;; amdgpu-corpus repo=ROCm/rocFFT kind=compiled arch=gfx1030 opt=O3
	.text
	.amdgcn_target "amdgcn-amd-amdhsa--gfx1030"
	.amdhsa_code_object_version 6
	.protected	fft_rtc_back_len200_factors_8_5_5_wgs_400_tpt_40_half_op_CI_CI_sbrc_unaligned_dirReg ; -- Begin function fft_rtc_back_len200_factors_8_5_5_wgs_400_tpt_40_half_op_CI_CI_sbrc_unaligned_dirReg
	.globl	fft_rtc_back_len200_factors_8_5_5_wgs_400_tpt_40_half_op_CI_CI_sbrc_unaligned_dirReg
	.p2align	8
	.type	fft_rtc_back_len200_factors_8_5_5_wgs_400_tpt_40_half_op_CI_CI_sbrc_unaligned_dirReg,@function
fft_rtc_back_len200_factors_8_5_5_wgs_400_tpt_40_half_op_CI_CI_sbrc_unaligned_dirReg: ; @fft_rtc_back_len200_factors_8_5_5_wgs_400_tpt_40_half_op_CI_CI_sbrc_unaligned_dirReg
; %bb.0:
	s_clause 0x1
	s_load_dwordx8 s[8:15], s[4:5], 0x0
	s_load_dwordx2 s[24:25], s[4:5], 0x20
	s_mov_b32 s28, 0
	s_mov_b32 s26, 3
	s_mov_b64 s[30:31], 2
	s_mov_b32 s38, s28
	s_waitcnt lgkmcnt(0)
	s_load_dword s33, s[12:13], 0x8
	s_load_dwordx4 s[20:23], s[14:15], 0x0
	s_waitcnt lgkmcnt(0)
	s_add_i32 s0, s33, -1
	s_mul_hi_u32 s0, s0, 0xcccccccd
	s_lshr_b32 s0, s0, 3
	s_add_i32 s7, s0, 1
	v_cvt_f32_u32_e32 v1, s7
	s_sub_i32 s1, 0, s7
	v_rcp_iflag_f32_e32 v1, v1
	v_mul_f32_e32 v1, 0x4f7ffffe, v1
	v_cvt_u32_f32_e32 v1, v1
	v_readfirstlane_b32 s0, v1
	s_mul_i32 s1, s1, s0
	s_mul_hi_u32 s1, s0, s1
	s_add_i32 s16, s0, s1
	s_load_dwordx4 s[0:3], s[4:5], 0x58
	s_mul_hi_u32 s4, s6, s16
	s_load_dwordx4 s[16:19], s[24:25], 0x0
	s_mul_i32 s5, s4, s7
	s_waitcnt lgkmcnt(0)
	s_add_i32 s19, s4, 1
	s_sub_i32 s5, s6, s5
	s_sub_i32 s23, s5, s7
	s_cmp_ge_u32 s5, s7
	s_cselect_b32 s4, s19, s4
	s_cselect_b32 s5, s23, s5
	s_add_i32 s19, s4, 1
	s_cmp_ge_u32 s5, s7
	s_cselect_b32 s19, s19, s4
	v_cmp_gt_u64_e64 s4, s[10:11], 2
	s_mul_i32 s5, s19, s7
	s_sub_i32 s23, s6, s5
	s_mul_i32 s23, s23, 10
	s_and_b32 vcc_lo, exec_lo, s4
	s_mul_i32 s5, s17, s23
	s_mul_hi_u32 s27, s16, s23
	s_mul_i32 s39, s23, s22
	s_mul_i32 s4, s16, s23
	s_add_i32 s5, s27, s5
	s_cbranch_vccz .LBB0_8
.LBB0_1:                                ; =>This Inner Loop Header: Depth=1
	s_lshl_b64 s[34:35], s[30:31], 3
	s_add_u32 s30, s12, s34
	s_addc_u32 s31, s13, s35
	s_load_dwordx2 s[30:31], s[30:31], 0x0
	s_waitcnt lgkmcnt(0)
	s_mov_b32 s29, s31
	s_cmp_lg_u64 s[28:29], 0
	s_cbranch_scc0 .LBB0_6
; %bb.2:                                ;   in Loop: Header=BB0_1 Depth=1
	v_cvt_f32_u32_e32 v1, s30
	v_cvt_f32_u32_e32 v2, s31
	s_sub_u32 s36, 0, s30
	s_subb_u32 s37, 0, s31
	v_fmac_f32_e32 v1, 0x4f800000, v2
	v_rcp_f32_e32 v1, v1
	v_mul_f32_e32 v1, 0x5f7ffffc, v1
	v_mul_f32_e32 v2, 0x2f800000, v1
	v_trunc_f32_e32 v2, v2
	v_fmac_f32_e32 v1, 0xcf800000, v2
	v_cvt_u32_f32_e32 v2, v2
	v_cvt_u32_f32_e32 v1, v1
	v_readfirstlane_b32 s27, v2
	v_readfirstlane_b32 s29, v1
	s_mul_i32 s40, s36, s27
	s_mul_hi_u32 s42, s36, s29
	s_mul_i32 s41, s37, s29
	s_add_i32 s40, s42, s40
	s_mul_i32 s43, s36, s29
	s_add_i32 s40, s40, s41
	s_mul_hi_u32 s42, s29, s43
	s_mul_hi_u32 s44, s27, s43
	s_mul_i32 s41, s27, s43
	s_mul_hi_u32 s43, s29, s40
	s_mul_i32 s29, s29, s40
	s_mul_hi_u32 s45, s27, s40
	s_add_u32 s29, s42, s29
	s_addc_u32 s42, 0, s43
	s_add_u32 s29, s29, s41
	s_mul_i32 s40, s27, s40
	s_addc_u32 s29, s42, s44
	s_addc_u32 s41, s45, 0
	s_add_u32 s29, s29, s40
	s_addc_u32 s40, 0, s41
	v_add_co_u32 v1, s29, v1, s29
	s_cmp_lg_u32 s29, 0
	s_addc_u32 s27, s27, s40
	v_readfirstlane_b32 s29, v1
	s_mul_i32 s40, s36, s27
	s_mul_hi_u32 s41, s36, s29
	s_mul_i32 s37, s37, s29
	s_add_i32 s40, s41, s40
	s_mul_i32 s36, s36, s29
	s_add_i32 s40, s40, s37
	s_mul_hi_u32 s41, s27, s36
	s_mul_i32 s42, s27, s36
	s_mul_hi_u32 s36, s29, s36
	s_mul_hi_u32 s43, s29, s40
	s_mul_i32 s29, s29, s40
	s_mul_hi_u32 s37, s27, s40
	s_add_u32 s29, s36, s29
	s_addc_u32 s36, 0, s43
	s_add_u32 s29, s29, s42
	s_mul_i32 s40, s27, s40
	s_addc_u32 s29, s36, s41
	s_addc_u32 s36, s37, 0
	s_add_u32 s29, s29, s40
	s_addc_u32 s36, 0, s36
	v_add_co_u32 v1, s29, v1, s29
	s_cmp_lg_u32 s29, 0
	s_addc_u32 s27, s27, s36
	v_readfirstlane_b32 s29, v1
	s_mul_i32 s36, s19, s27
	s_mul_hi_u32 s27, s19, s27
	s_mul_hi_u32 s29, s19, s29
	s_add_u32 s29, s29, s36
	s_addc_u32 s29, 0, s27
	s_mul_i32 s27, s31, s29
	s_mul_hi_u32 s36, s30, s29
	s_mul_i32 s37, s30, s29
	s_add_i32 s36, s36, s27
	v_sub_co_u32 v1, s27, s19, s37
	s_sub_i32 s37, 0, s36
	s_cmp_lg_u32 s27, 0
	v_sub_co_u32 v2, s40, v1, s30
	s_subb_u32 s37, s37, s31
	s_cmp_lg_u32 s40, 0
	v_readfirstlane_b32 s40, v2
	s_subb_u32 s37, s37, 0
	s_cmp_ge_u32 s37, s31
	s_cselect_b32 s41, -1, 0
	s_cmp_ge_u32 s40, s30
	s_cselect_b32 s40, -1, 0
	s_cmp_eq_u32 s37, s31
	s_cselect_b32 s37, s40, s41
	s_add_u32 s40, s29, 1
	s_addc_u32 s41, 0, 0
	s_add_u32 s42, s29, 2
	s_addc_u32 s43, 0, 0
	s_cmp_lg_u32 s37, 0
	s_cselect_b32 s40, s42, s40
	s_cselect_b32 s37, s43, s41
	s_cmp_lg_u32 s27, 0
	v_readfirstlane_b32 s27, v1
	s_subb_u32 s36, 0, s36
	s_cmp_ge_u32 s36, s31
	s_cselect_b32 s41, -1, 0
	s_cmp_ge_u32 s27, s30
	s_cselect_b32 s27, -1, 0
	s_cmp_eq_u32 s36, s31
	s_cselect_b32 s27, s27, s41
	s_cmp_lg_u32 s27, 0
	s_cselect_b32 s37, s37, 0
	s_cselect_b32 s36, s40, s29
	s_cbranch_execnz .LBB0_4
.LBB0_3:                                ;   in Loop: Header=BB0_1 Depth=1
	v_cvt_f32_u32_e32 v1, s30
	s_sub_i32 s29, 0, s30
	v_rcp_iflag_f32_e32 v1, v1
	v_mul_f32_e32 v1, 0x4f7ffffe, v1
	v_cvt_u32_f32_e32 v1, v1
	v_readfirstlane_b32 s27, v1
	s_mul_i32 s29, s29, s27
	s_mul_hi_u32 s29, s27, s29
	s_add_i32 s27, s27, s29
	s_mul_hi_u32 s27, s19, s27
	s_mul_i32 s29, s27, s30
	s_add_i32 s36, s27, 1
	s_sub_i32 s29, s19, s29
	s_sub_i32 s37, s29, s30
	s_cmp_ge_u32 s29, s30
	s_cselect_b32 s27, s36, s27
	s_cselect_b32 s29, s37, s29
	s_add_i32 s36, s27, 1
	s_cmp_ge_u32 s29, s30
	s_mov_b32 s37, s28
	s_cselect_b32 s36, s36, s27
.LBB0_4:                                ;   in Loop: Header=BB0_1 Depth=1
	s_mul_i32 s27, s36, s31
	s_mul_hi_u32 s29, s36, s30
	s_mul_i32 s31, s36, s30
	s_add_i32 s27, s29, s27
	s_mul_i32 s29, s37, s30
	s_mul_i32 s7, s7, s30
	s_add_i32 s27, s27, s29
	s_sub_u32 s19, s19, s31
	s_subb_u32 s29, 0, s27
	s_add_u32 s40, s14, s34
	s_addc_u32 s41, s15, s35
	s_load_dwordx2 s[40:41], s[40:41], 0x0
	s_waitcnt lgkmcnt(0)
	s_mul_i32 s27, s40, s29
	s_mul_hi_u32 s31, s40, s19
	s_mul_i32 s37, s41, s19
	s_add_i32 s27, s31, s27
	s_mul_i32 s31, s40, s19
	s_add_i32 s27, s27, s37
	s_add_u32 s39, s31, s39
	s_addc_u32 s38, s27, s38
	s_add_u32 s34, s24, s34
	s_addc_u32 s35, s25, s35
	s_mov_b32 s27, s28
	s_load_dwordx2 s[34:35], s[34:35], 0x0
	s_mov_b64 s[30:31], s[26:27]
	v_cmp_ge_u64_e64 s27, s[26:27], s[10:11]
	s_waitcnt lgkmcnt(0)
	s_mul_i32 s29, s34, s29
	s_mul_hi_u32 s37, s34, s19
	s_mul_i32 s35, s35, s19
	s_add_i32 s29, s37, s29
	s_mul_i32 s19, s34, s19
	s_add_i32 s29, s29, s35
	s_add_u32 s4, s19, s4
	s_addc_u32 s5, s29, s5
	s_and_b32 vcc_lo, exec_lo, s27
	s_add_i32 s26, s26, 1
	s_cbranch_vccnz .LBB0_7
; %bb.5:                                ;   in Loop: Header=BB0_1 Depth=1
	s_mov_b32 s19, s36
	s_branch .LBB0_1
.LBB0_6:                                ;   in Loop: Header=BB0_1 Depth=1
                                        ; implicit-def: $sgpr36_sgpr37
	s_branch .LBB0_3
.LBB0_7:
	v_cvt_f32_u32_e32 v1, s7
	s_sub_i32 s13, 0, s7
	v_rcp_iflag_f32_e32 v1, v1
	v_mul_f32_e32 v1, 0x4f7ffffe, v1
	v_cvt_u32_f32_e32 v1, v1
	v_readfirstlane_b32 s12, v1
	s_mul_i32 s13, s13, s12
	s_mul_hi_u32 s13, s12, s13
	s_add_i32 s12, s12, s13
	s_mul_hi_u32 s12, s6, s12
	s_mul_i32 s13, s12, s7
	s_sub_i32 s6, s6, s13
	s_add_i32 s13, s12, 1
	s_sub_i32 s19, s6, s7
	s_cmp_ge_u32 s6, s7
	s_cselect_b32 s12, s13, s12
	s_cselect_b32 s6, s19, s6
	s_add_i32 s13, s12, 1
	s_cmp_ge_u32 s6, s7
	s_cselect_b32 s19, s13, s12
.LBB0_8:
	s_lshl_b64 s[6:7], s[10:11], 3
	v_mul_u32_u24_e32 v1, 0x148, v0
	s_add_u32 s10, s14, s6
	s_addc_u32 s11, s15, s7
	s_mov_b32 s13, -1
	s_load_dwordx2 s[10:11], s[10:11], 0x0
	v_lshrrev_b32_e32 v3, 16, v1
	v_mul_lo_u16 v1, 0xc8, v3
	v_sub_nc_u16 v1, v0, v1
	v_and_b32_e32 v4, 0xffff, v1
	s_waitcnt lgkmcnt(0)
	s_mul_i32 s11, s11, s19
	s_mul_hi_u32 s12, s10, s19
	s_mul_i32 s10, s10, s19
	s_add_i32 s12, s12, s11
	s_add_u32 s10, s10, s39
	s_addc_u32 s11, s12, s38
	s_add_u32 s6, s24, s6
	s_addc_u32 s7, s25, s7
	s_add_i32 s12, s23, 10
	s_load_dwordx2 s[6:7], s[6:7], 0x0
	s_cmp_le_u32 s12, s33
	s_cselect_b32 s12, -1, 0
	s_and_b32 vcc_lo, exec_lo, s12
	s_cbranch_vccnz .LBB0_13
; %bb.9:
	v_add_nc_u32_e32 v5, s23, v3
	s_mov_b32 s13, exec_lo
	v_cmpx_gt_u32_e64 s33, v5
	s_cbranch_execz .LBB0_12
; %bb.10:
	v_mad_u64_u32 v[1:2], null, s20, v4, 0
	s_lshl_b64 s[14:15], s[10:11], 2
	v_lshlrev_b32_e32 v9, 2, v3
	s_add_u32 s14, s0, s14
	s_addc_u32 s15, s1, s15
	v_mad_u64_u32 v[6:7], null, s21, v4, v[2:3]
	v_mov_b32_e32 v2, v6
	v_mul_u32_u24_e32 v6, 40, v4
	v_lshlrev_b64 v[7:8], 2, v[1:2]
	v_mul_lo_u32 v1, v3, s22
	v_add3_u32 v6, v6, v9, 0
	v_mov_b32_e32 v2, 0
	v_add_co_u32 v7, vcc_lo, s14, v7
	v_add_co_ci_u32_e32 v8, vcc_lo, s15, v8, vcc_lo
	s_mov_b32 s14, 0
	s_lshl_b32 s15, s22, 1
.LBB0_11:                               ; =>This Inner Loop Header: Depth=1
	v_lshlrev_b64 v[9:10], 2, v[1:2]
	v_add_nc_u32_e32 v5, 2, v5
	v_add_nc_u32_e32 v1, s15, v1
	v_add_co_u32 v9, vcc_lo, v7, v9
	v_add_co_ci_u32_e32 v10, vcc_lo, v8, v10, vcc_lo
	v_cmp_le_u32_e32 vcc_lo, s33, v5
	global_load_dword v9, v[9:10], off
	s_or_b32 s14, vcc_lo, s14
	s_waitcnt vmcnt(0)
	ds_write_b32 v6, v9
	v_add_nc_u32_e32 v6, 8, v6
	s_andn2_b32 exec_lo, exec_lo, s14
	s_cbranch_execnz .LBB0_11
.LBB0_12:
	s_or_b32 exec_lo, exec_lo, s13
	s_mov_b32 s13, 0
.LBB0_13:
	s_andn2_b32 vcc_lo, exec_lo, s13
	s_cbranch_vccnz .LBB0_15
; %bb.14:
	v_mad_u64_u32 v[1:2], null, s20, v4, 0
	v_mul_lo_u32 v5, s22, v3
	s_lshl_b64 s[10:11], s[10:11], 2
	v_mov_b32_e32 v6, 0
	s_add_u32 s0, s0, s10
	s_addc_u32 s1, s1, s11
	s_lshl_b32 s10, s22, 1
	v_mad_u64_u32 v[9:10], null, s21, v4, v[2:3]
	v_lshlrev_b64 v[7:8], 2, v[5:6]
	v_add_nc_u32_e32 v5, s10, v5
	v_lshlrev_b32_e32 v3, 2, v3
	v_lshlrev_b64 v[10:11], 2, v[5:6]
	v_mov_b32_e32 v2, v9
	v_add_nc_u32_e32 v5, s10, v5
	v_lshlrev_b64 v[1:2], 2, v[1:2]
	v_lshlrev_b64 v[12:13], 2, v[5:6]
	v_add_nc_u32_e32 v5, s10, v5
	v_add_co_u32 v16, vcc_lo, s0, v1
	v_lshlrev_b64 v[14:15], 2, v[5:6]
	v_add_nc_u32_e32 v5, s10, v5
	v_add_co_ci_u32_e32 v17, vcc_lo, s1, v2, vcc_lo
	v_lshlrev_b64 v[1:2], 2, v[5:6]
	v_add_co_u32 v5, vcc_lo, v16, v7
	v_add_co_ci_u32_e32 v6, vcc_lo, v17, v8, vcc_lo
	v_add_co_u32 v7, vcc_lo, v16, v10
	v_add_co_ci_u32_e32 v8, vcc_lo, v17, v11, vcc_lo
	;; [unrolled: 2-line block ×5, first 2 shown]
	s_clause 0x4
	global_load_dword v5, v[5:6], off
	global_load_dword v6, v[7:8], off
	;; [unrolled: 1-line block ×5, first 2 shown]
	v_mul_u32_u24_e32 v2, 40, v4
	v_add3_u32 v2, 0, v2, v3
	s_waitcnt vmcnt(3)
	ds_write2_b32 v2, v5, v6 offset1:2
	s_waitcnt vmcnt(1)
	ds_write2_b32 v2, v7, v8 offset0:4 offset1:6
	s_waitcnt vmcnt(0)
	ds_write_b32 v2, v1 offset:32
.LBB0_15:
	v_mov_b32_e32 v1, 0x199a
	v_mul_hi_u32 v11, 0x1999999a, v0
	s_waitcnt lgkmcnt(0)
	s_barrier
	buffer_gl0_inv
	v_mul_u32_u24_sdwa v1, v0, v1 dst_sel:DWORD dst_unused:UNUSED_PAD src0_sel:WORD_0 src1_sel:DWORD
	s_mov_b32 s0, exec_lo
	v_mad_u32_u24 v13, v11, 40, 0
	v_lshrrev_b32_e32 v1, 16, v1
	v_mul_lo_u16 v1, v1, 10
	v_sub_nc_u16 v1, v0, v1
	v_and_b32_e32 v9, 0xffff, v1
	v_lshl_add_u32 v10, v9, 2, v13
	v_lshlrev_b32_e32 v12, 2, v9
	v_add_nc_u32_e32 v1, 0x7c0, v10
	v_add_nc_u32_e32 v5, 0xfa0, v10
	;; [unrolled: 1-line block ×3, first 2 shown]
	ds_read2_b32 v[3:4], v10 offset1:250
	ds_read2_b32 v[1:2], v1 offset0:4 offset1:254
	ds_read2_b32 v[5:6], v5 offset1:250
	ds_read2_b32 v[7:8], v7 offset0:4 offset1:254
	s_waitcnt lgkmcnt(0)
	s_barrier
	buffer_gl0_inv
	v_cmpx_gt_u32_e32 0xfa, v0
	s_cbranch_execz .LBB0_17
; %bb.16:
	v_pk_add_f16 v5, v3, v5 neg_lo:[0,1] neg_hi:[0,1]
	v_pk_add_f16 v7, v1, v7 neg_lo:[0,1] neg_hi:[0,1]
	;; [unrolled: 1-line block ×4, first 2 shown]
	v_lshrrev_b32_e32 v17, 16, v5
	v_add_f16_sdwa v14, v5, v7 dst_sel:DWORD dst_unused:UNUSED_PAD src0_sel:DWORD src1_sel:WORD_1
	v_lshrrev_b32_e32 v15, 16, v6
	v_add_f16_sdwa v16, v6, v8 dst_sel:DWORD dst_unused:UNUSED_PAD src0_sel:DWORD src1_sel:WORD_1
	v_pk_fma_f16 v3, v3, 2.0, v5 op_sel_hi:[1,0,1] neg_lo:[0,0,1] neg_hi:[0,0,1]
	v_pk_fma_f16 v4, v4, 2.0, v6 op_sel_hi:[1,0,1] neg_lo:[0,0,1] neg_hi:[0,0,1]
	v_fma_f16 v5, v5, 2.0, -v14
	v_sub_f16_e32 v18, v15, v8
	v_fma_f16 v6, v6, 2.0, -v16
	v_sub_f16_e32 v20, v17, v7
	v_pk_fma_f16 v2, v2, 2.0, v8 op_sel_hi:[1,0,1] neg_lo:[0,0,1] neg_hi:[0,0,1]
	v_pk_fma_f16 v1, v1, 2.0, v7 op_sel_hi:[1,0,1] neg_lo:[0,0,1] neg_hi:[0,0,1]
	v_fma_f16 v8, v15, 2.0, -v18
	v_fmamk_f16 v15, v6, 0xb9a8, v5
	v_fma_f16 v17, v17, 2.0, -v20
	v_fmamk_f16 v19, v16, 0x39a8, v14
	v_pk_add_f16 v2, v4, v2 neg_lo:[0,1] neg_hi:[0,1]
	v_pk_add_f16 v1, v3, v1 neg_lo:[0,1] neg_hi:[0,1]
	v_fmac_f16_e32 v15, 0x39a8, v8
	v_fmamk_f16 v8, v8, 0xb9a8, v17
	v_fmac_f16_e32 v19, 0x39a8, v18
	v_fmamk_f16 v7, v18, 0x39a8, v20
	v_alignbit_b32 v18, s0, v2, 16
	v_pk_fma_f16 v3, v3, 2.0, v1 op_sel_hi:[1,0,1] neg_lo:[0,0,1] neg_hi:[0,0,1]
	v_fmac_f16_e32 v8, 0xb9a8, v6
	v_alignbit_b32 v6, s0, v1, 16
	v_pk_fma_f16 v4, v4, 2.0, v2 op_sel_hi:[1,0,1] neg_lo:[0,0,1] neg_hi:[0,0,1]
	v_fmac_f16_e32 v7, 0xb9a8, v16
	v_pk_add_f16 v16, v1, v18
	v_lshrrev_b32_e32 v18, 16, v1
	v_pk_add_f16 v2, v6, v2 neg_lo:[0,1] neg_hi:[0,1]
	v_fma_f16 v5, v5, 2.0, -v15
	v_fma_f16 v6, v17, 2.0, -v8
	v_mul_u32_u24_e32 v17, 0x118, v11
	v_pk_add_f16 v4, v3, v4 neg_lo:[0,1] neg_hi:[0,1]
	v_fma_f16 v14, v14, 2.0, -v19
	v_fma_f16 v1, v1, 2.0, -v16
	;; [unrolled: 1-line block ×4, first 2 shown]
	v_add3_u32 v13, v13, v17, v12
	v_pk_fma_f16 v3, v3, 2.0, v4 op_sel_hi:[1,0,1] neg_lo:[0,0,1] neg_hi:[0,0,1]
	v_pack_b32_f16 v5, v5, v6
	v_pack_b32_f16 v1, v1, v18
	;; [unrolled: 1-line block ×6, first 2 shown]
	ds_write2_b32 v13, v3, v5 offset1:10
	ds_write2_b32 v13, v1, v6 offset0:20 offset1:30
	ds_write2_b32 v13, v4, v8 offset0:40 offset1:50
	;; [unrolled: 1-line block ×3, first 2 shown]
.LBB0_17:
	s_or_b32 exec_lo, exec_lo, s0
	v_and_b32_e32 v5, 7, v11
	s_waitcnt lgkmcnt(0)
	s_barrier
	buffer_gl0_inv
	v_lshrrev_b32_e32 v14, 3, v11
	v_lshlrev_b32_e32 v1, 4, v5
	v_add_nc_u32_e32 v15, s23, v9
	v_mul_u32_u24_e32 v14, 40, v14
	global_load_dwordx4 v[1:4], v1, s[8:9]
	ds_read_b32 v6, v10 offset:1600
	ds_read_b32 v7, v10 offset:3200
	;; [unrolled: 1-line block ×4, first 2 shown]
	v_cmp_gt_u32_e32 vcc_lo, s33, v15
	v_or_b32_e32 v5, v14, v5
	ds_read_b32 v14, v10
	ds_read_u16 v16, v10 offset:2
	s_waitcnt vmcnt(0) lgkmcnt(0)
	s_or_b32 s0, s12, vcc_lo
	s_barrier
	v_mul_u32_u24_e32 v5, 40, v5
	buffer_gl0_inv
	v_add3_u32 v5, 0, v5, v12
	v_lshrrev_b32_e32 v15, 16, v6
	v_lshrrev_b32_e32 v17, 16, v7
	;; [unrolled: 1-line block ×4, first 2 shown]
	v_mul_f16_sdwa v12, v1, v15 dst_sel:DWORD dst_unused:UNUSED_PAD src0_sel:WORD_1 src1_sel:DWORD
	v_mul_f16_sdwa v20, v1, v6 dst_sel:DWORD dst_unused:UNUSED_PAD src0_sel:WORD_1 src1_sel:DWORD
	;; [unrolled: 1-line block ×8, first 2 shown]
	v_fmac_f16_e32 v12, v1, v6
	v_fma_f16 v1, v1, v15, -v20
	v_fmac_f16_e32 v21, v2, v7
	v_fma_f16 v2, v2, v17, -v22
	v_fmac_f16_e32 v23, v3, v8
	v_fma_f16 v3, v3, v18, -v24
	v_fmac_f16_e32 v25, v4, v13
	v_fma_f16 v6, v4, v19, -v26
	v_add_f16_e32 v22, v16, v1
	v_add_f16_e32 v7, v21, v23
	;; [unrolled: 1-line block ×6, first 2 shown]
	v_sub_f16_e32 v8, v1, v6
	v_sub_f16_e32 v13, v2, v3
	;; [unrolled: 1-line block ×9, first 2 shown]
	v_fma_f16 v7, -0.5, v7, v14
	v_fmac_f16_e32 v14, -0.5, v18
	v_add_f16_e32 v2, v22, v2
	v_fma_f16 v18, -0.5, v24, v16
	v_sub_f16_e32 v26, v21, v23
	v_fmac_f16_e32 v16, -0.5, v29
	v_sub_f16_e32 v28, v6, v3
	v_sub_f16_e32 v30, v3, v6
	v_add_f16_e32 v4, v4, v21
	v_add_f16_e32 v15, v15, v17
	;; [unrolled: 1-line block ×3, first 2 shown]
	v_fmamk_f16 v20, v8, 0xbb9c, v7
	v_add_f16_e32 v2, v2, v3
	v_fmamk_f16 v3, v12, 0x3b9c, v18
	v_fmamk_f16 v21, v13, 0x3b9c, v14
	v_fmac_f16_e32 v14, 0xbb9c, v13
	v_fmamk_f16 v22, v26, 0xbb9c, v16
	v_fmac_f16_e32 v16, 0x3b9c, v26
	v_fmac_f16_e32 v7, 0x3b9c, v8
	;; [unrolled: 1-line block ×3, first 2 shown]
	v_add_f16_e32 v19, v27, v28
	v_add_f16_e32 v4, v4, v23
	v_fmac_f16_e32 v20, 0xb8b4, v13
	v_fmac_f16_e32 v3, 0x38b4, v26
	v_add_f16_e32 v1, v1, v30
	v_fmac_f16_e32 v21, 0xb8b4, v8
	v_fmac_f16_e32 v14, 0x38b4, v8
	;; [unrolled: 1-line block ×6, first 2 shown]
	v_add_f16_e32 v4, v4, v25
	v_add_f16_e32 v2, v2, v6
	v_fmac_f16_e32 v20, 0x34f2, v15
	v_fmac_f16_e32 v3, 0x34f2, v19
	;; [unrolled: 1-line block ×8, first 2 shown]
	v_pack_b32_f16 v1, v4, v2
	v_pack_b32_f16 v2, v20, v3
	;; [unrolled: 1-line block ×5, first 2 shown]
	ds_write2_b32 v5, v1, v2 offset1:80
	ds_write2_b32 v5, v3, v4 offset0:160 offset1:240
	ds_write_b32 v5, v6 offset:1280
	s_waitcnt lgkmcnt(0)
	s_barrier
	buffer_gl0_inv
	s_and_saveexec_b32 s1, s0
	s_cbranch_execz .LBB0_19
; %bb.18:
	v_mul_hi_u32 v1, 0x6666667, v11
	v_mad_u64_u32 v[5:6], null, s16, v9, 0
	v_mul_hi_u32_u24_e32 v0, 0xa3d70b, v0
	s_mul_i32 s1, s7, s19
	s_mul_hi_u32 s7, s6, s19
	s_mul_i32 s0, s6, s19
	s_add_i32 s1, s7, s1
	v_mul_u32_u24_e32 v1, 40, v1
	v_mad_u64_u32 v[6:7], null, s17, v9, v[6:7]
	v_mov_b32_e32 v8, 0
	s_lshl_b64 s[0:1], s[0:1], 2
	v_sub_nc_u32_e32 v11, v11, v1
	s_mul_i32 s6, s18, 40
	s_add_u32 s2, s2, s0
	s_addc_u32 s3, s3, s1
	v_lshlrev_b64 v[5:6], 2, v[5:6]
	v_lshlrev_b32_e32 v1, 4, v11
	v_mad_u32_u24 v0, 0xc8, v0, v11
	s_lshl_b64 s[0:1], s[4:5], 2
	s_add_u32 s0, s2, s0
	global_load_dwordx4 v[1:4], v1, s[8:9] offset:128
	v_mul_lo_u32 v7, v0, s18
	ds_read_b32 v15, v10 offset:4800
	ds_read_b32 v16, v10 offset:6400
	;; [unrolled: 1-line block ×4, first 2 shown]
	ds_read_b32 v19, v10
	ds_read_u16 v20, v10 offset:2
	s_addc_u32 s1, s3, s1
	v_add_co_u32 v24, vcc_lo, s0, v5
	v_add_co_ci_u32_e32 v25, vcc_lo, s1, v6, vcc_lo
	v_lshlrev_b64 v[9:10], 2, v[7:8]
	v_add_nc_u32_e32 v7, s6, v7
	v_lshlrev_b64 v[5:6], 2, v[7:8]
	v_add_nc_u32_e32 v7, s6, v7
	v_add_co_u32 v9, vcc_lo, v24, v9
	v_add_co_ci_u32_e32 v10, vcc_lo, v25, v10, vcc_lo
	v_lshlrev_b64 v[11:12], 2, v[7:8]
	v_add_nc_u32_e32 v7, s6, v7
	v_add_co_u32 v5, vcc_lo, v24, v5
	v_add_co_ci_u32_e32 v6, vcc_lo, v25, v6, vcc_lo
	;; [unrolled: 4-line block ×3, first 2 shown]
	v_lshlrev_b64 v[7:8], 2, v[7:8]
	s_waitcnt lgkmcnt(3)
	v_lshrrev_b32_e32 v0, 16, v17
	s_waitcnt lgkmcnt(2)
	v_lshrrev_b32_e32 v21, 16, v18
	v_lshrrev_b32_e32 v22, 16, v15
	;; [unrolled: 1-line block ×3, first 2 shown]
	v_add_co_u32 v13, vcc_lo, v24, v13
	v_add_co_ci_u32_e32 v14, vcc_lo, v25, v14, vcc_lo
	v_add_co_u32 v7, vcc_lo, v24, v7
	v_add_co_ci_u32_e32 v8, vcc_lo, v25, v8, vcc_lo
	s_waitcnt vmcnt(0)
	v_mul_f16_sdwa v24, v2, v17 dst_sel:DWORD dst_unused:UNUSED_PAD src0_sel:WORD_1 src1_sel:DWORD
	v_mul_f16_sdwa v25, v1, v18 dst_sel:DWORD dst_unused:UNUSED_PAD src0_sel:WORD_1 src1_sel:DWORD
	;; [unrolled: 1-line block ×8, first 2 shown]
	v_fma_f16 v0, v2, v0, -v24
	v_fma_f16 v21, v1, v21, -v25
	;; [unrolled: 1-line block ×4, first 2 shown]
	v_fmac_f16_e32 v28, v2, v17
	v_fmac_f16_e32 v29, v3, v15
	;; [unrolled: 1-line block ×4, first 2 shown]
	v_sub_f16_e32 v1, v0, v21
	v_sub_f16_e32 v2, v22, v23
	v_add_f16_e32 v4, v21, v23
	v_sub_f16_e32 v16, v21, v0
	v_sub_f16_e32 v17, v23, v22
	v_add_f16_e32 v18, v0, v22
	v_add_f16_e32 v27, v30, v31
	v_add_f16_e32 v35, v28, v29
	s_waitcnt lgkmcnt(0)
	v_add_f16_e32 v24, v20, v21
	v_sub_f16_e32 v15, v30, v31
	v_sub_f16_e32 v25, v28, v30
	;; [unrolled: 1-line block ×3, first 2 shown]
	v_add_f16_e32 v30, v30, v19
	v_sub_f16_e32 v26, v29, v31
	v_sub_f16_e32 v21, v21, v23
	v_add_f16_e32 v1, v1, v2
	v_fma_f16 v2, -0.5, v4, v20
	v_add_f16_e32 v4, v16, v17
	v_fma_f16 v16, -0.5, v18, v20
	v_fma_f16 v18, -0.5, v27, v19
	;; [unrolled: 1-line block ×3, first 2 shown]
	v_sub_f16_e32 v3, v28, v29
	v_sub_f16_e32 v32, v0, v22
	v_add_f16_e32 v0, v24, v0
	v_add_f16_e32 v24, v30, v28
	v_sub_f16_e32 v34, v31, v29
	v_add_f16_e32 v17, v25, v26
	v_fmamk_f16 v26, v15, 0xbb9c, v16
	v_fmac_f16_e32 v16, 0x3b9c, v15
	v_fmamk_f16 v27, v21, 0x3b9c, v19
	v_fmac_f16_e32 v19, 0xbb9c, v21
	;; [unrolled: 2-line block ×3, first 2 shown]
	v_add_f16_e32 v0, v0, v22
	v_fmamk_f16 v22, v32, 0xbb9c, v18
	v_fmac_f16_e32 v18, 0x3b9c, v32
	v_add_f16_e32 v24, v24, v29
	v_add_f16_e32 v20, v33, v34
	v_fmac_f16_e32 v16, 0x38b4, v3
	v_fmac_f16_e32 v19, 0xb8b4, v32
	;; [unrolled: 1-line block ×8, first 2 shown]
	v_add_f16_e32 v0, v0, v23
	v_add_f16_e32 v3, v24, v31
	v_fmac_f16_e32 v16, 0x34f2, v4
	v_fmac_f16_e32 v19, 0x34f2, v20
	;; [unrolled: 1-line block ×8, first 2 shown]
	v_pack_b32_f16 v0, v3, v0
	v_pack_b32_f16 v1, v19, v16
	;; [unrolled: 1-line block ×5, first 2 shown]
	global_store_dword v[9:10], v0, off
	global_store_dword v[5:6], v1, off
	;; [unrolled: 1-line block ×5, first 2 shown]
.LBB0_19:
	s_endpgm
	.section	.rodata,"a",@progbits
	.p2align	6, 0x0
	.amdhsa_kernel fft_rtc_back_len200_factors_8_5_5_wgs_400_tpt_40_half_op_CI_CI_sbrc_unaligned_dirReg
		.amdhsa_group_segment_fixed_size 0
		.amdhsa_private_segment_fixed_size 0
		.amdhsa_kernarg_size 104
		.amdhsa_user_sgpr_count 6
		.amdhsa_user_sgpr_private_segment_buffer 1
		.amdhsa_user_sgpr_dispatch_ptr 0
		.amdhsa_user_sgpr_queue_ptr 0
		.amdhsa_user_sgpr_kernarg_segment_ptr 1
		.amdhsa_user_sgpr_dispatch_id 0
		.amdhsa_user_sgpr_flat_scratch_init 0
		.amdhsa_user_sgpr_private_segment_size 0
		.amdhsa_wavefront_size32 1
		.amdhsa_uses_dynamic_stack 0
		.amdhsa_system_sgpr_private_segment_wavefront_offset 0
		.amdhsa_system_sgpr_workgroup_id_x 1
		.amdhsa_system_sgpr_workgroup_id_y 0
		.amdhsa_system_sgpr_workgroup_id_z 0
		.amdhsa_system_sgpr_workgroup_info 0
		.amdhsa_system_vgpr_workitem_id 0
		.amdhsa_next_free_vgpr 36
		.amdhsa_next_free_sgpr 46
		.amdhsa_reserve_vcc 1
		.amdhsa_reserve_flat_scratch 0
		.amdhsa_float_round_mode_32 0
		.amdhsa_float_round_mode_16_64 0
		.amdhsa_float_denorm_mode_32 3
		.amdhsa_float_denorm_mode_16_64 3
		.amdhsa_dx10_clamp 1
		.amdhsa_ieee_mode 1
		.amdhsa_fp16_overflow 0
		.amdhsa_workgroup_processor_mode 1
		.amdhsa_memory_ordered 1
		.amdhsa_forward_progress 0
		.amdhsa_shared_vgpr_count 0
		.amdhsa_exception_fp_ieee_invalid_op 0
		.amdhsa_exception_fp_denorm_src 0
		.amdhsa_exception_fp_ieee_div_zero 0
		.amdhsa_exception_fp_ieee_overflow 0
		.amdhsa_exception_fp_ieee_underflow 0
		.amdhsa_exception_fp_ieee_inexact 0
		.amdhsa_exception_int_div_zero 0
	.end_amdhsa_kernel
	.text
.Lfunc_end0:
	.size	fft_rtc_back_len200_factors_8_5_5_wgs_400_tpt_40_half_op_CI_CI_sbrc_unaligned_dirReg, .Lfunc_end0-fft_rtc_back_len200_factors_8_5_5_wgs_400_tpt_40_half_op_CI_CI_sbrc_unaligned_dirReg
                                        ; -- End function
	.section	.AMDGPU.csdata,"",@progbits
; Kernel info:
; codeLenInByte = 3824
; NumSgprs: 48
; NumVgprs: 36
; ScratchSize: 0
; MemoryBound: 0
; FloatMode: 240
; IeeeMode: 1
; LDSByteSize: 0 bytes/workgroup (compile time only)
; SGPRBlocks: 5
; VGPRBlocks: 4
; NumSGPRsForWavesPerEU: 48
; NumVGPRsForWavesPerEU: 36
; Occupancy: 13
; WaveLimiterHint : 1
; COMPUTE_PGM_RSRC2:SCRATCH_EN: 0
; COMPUTE_PGM_RSRC2:USER_SGPR: 6
; COMPUTE_PGM_RSRC2:TRAP_HANDLER: 0
; COMPUTE_PGM_RSRC2:TGID_X_EN: 1
; COMPUTE_PGM_RSRC2:TGID_Y_EN: 0
; COMPUTE_PGM_RSRC2:TGID_Z_EN: 0
; COMPUTE_PGM_RSRC2:TIDIG_COMP_CNT: 0
	.text
	.p2alignl 6, 3214868480
	.fill 48, 4, 3214868480
	.type	__hip_cuid_b5dca5f1b937290a,@object ; @__hip_cuid_b5dca5f1b937290a
	.section	.bss,"aw",@nobits
	.globl	__hip_cuid_b5dca5f1b937290a
__hip_cuid_b5dca5f1b937290a:
	.byte	0                               ; 0x0
	.size	__hip_cuid_b5dca5f1b937290a, 1

	.ident	"AMD clang version 19.0.0git (https://github.com/RadeonOpenCompute/llvm-project roc-6.4.0 25133 c7fe45cf4b819c5991fe208aaa96edf142730f1d)"
	.section	".note.GNU-stack","",@progbits
	.addrsig
	.addrsig_sym __hip_cuid_b5dca5f1b937290a
	.amdgpu_metadata
---
amdhsa.kernels:
  - .args:
      - .actual_access:  read_only
        .address_space:  global
        .offset:         0
        .size:           8
        .value_kind:     global_buffer
      - .offset:         8
        .size:           8
        .value_kind:     by_value
      - .actual_access:  read_only
        .address_space:  global
        .offset:         16
        .size:           8
        .value_kind:     global_buffer
      - .actual_access:  read_only
        .address_space:  global
        .offset:         24
        .size:           8
        .value_kind:     global_buffer
      - .actual_access:  read_only
        .address_space:  global
        .offset:         32
        .size:           8
        .value_kind:     global_buffer
      - .offset:         40
        .size:           8
        .value_kind:     by_value
      - .actual_access:  read_only
        .address_space:  global
        .offset:         48
        .size:           8
        .value_kind:     global_buffer
      - .actual_access:  read_only
        .address_space:  global
        .offset:         56
        .size:           8
        .value_kind:     global_buffer
      - .offset:         64
        .size:           4
        .value_kind:     by_value
      - .actual_access:  read_only
        .address_space:  global
        .offset:         72
        .size:           8
        .value_kind:     global_buffer
      - .actual_access:  read_only
        .address_space:  global
        .offset:         80
        .size:           8
        .value_kind:     global_buffer
      - .actual_access:  read_only
        .address_space:  global
        .offset:         88
        .size:           8
        .value_kind:     global_buffer
      - .actual_access:  write_only
        .address_space:  global
        .offset:         96
        .size:           8
        .value_kind:     global_buffer
    .group_segment_fixed_size: 0
    .kernarg_segment_align: 8
    .kernarg_segment_size: 104
    .language:       OpenCL C
    .language_version:
      - 2
      - 0
    .max_flat_workgroup_size: 400
    .name:           fft_rtc_back_len200_factors_8_5_5_wgs_400_tpt_40_half_op_CI_CI_sbrc_unaligned_dirReg
    .private_segment_fixed_size: 0
    .sgpr_count:     48
    .sgpr_spill_count: 0
    .symbol:         fft_rtc_back_len200_factors_8_5_5_wgs_400_tpt_40_half_op_CI_CI_sbrc_unaligned_dirReg.kd
    .uniform_work_group_size: 1
    .uses_dynamic_stack: false
    .vgpr_count:     36
    .vgpr_spill_count: 0
    .wavefront_size: 32
    .workgroup_processor_mode: 1
amdhsa.target:   amdgcn-amd-amdhsa--gfx1030
amdhsa.version:
  - 1
  - 2
...

	.end_amdgpu_metadata
